;; amdgpu-corpus repo=ROCm/rocFFT kind=compiled arch=gfx906 opt=O3
	.text
	.amdgcn_target "amdgcn-amd-amdhsa--gfx906"
	.amdhsa_code_object_version 6
	.protected	bluestein_single_back_len63_dim1_half_op_CI_CI ; -- Begin function bluestein_single_back_len63_dim1_half_op_CI_CI
	.globl	bluestein_single_back_len63_dim1_half_op_CI_CI
	.p2align	8
	.type	bluestein_single_back_len63_dim1_half_op_CI_CI,@function
bluestein_single_back_len63_dim1_half_op_CI_CI: ; @bluestein_single_back_len63_dim1_half_op_CI_CI
; %bb.0:
	v_mul_u32_u24_e32 v1, 0xc31, v0
	s_load_dwordx4 s[12:15], s[4:5], 0x28
	v_lshrrev_b32_e32 v1, 16, v1
	v_mad_u64_u32 v[4:5], s[0:1], s6, 12, v[1:2]
	v_mov_b32_e32 v5, 0
	s_waitcnt lgkmcnt(0)
	v_cmp_gt_u64_e32 vcc, s[12:13], v[4:5]
	s_and_saveexec_b64 s[0:1], vcc
	s_cbranch_execz .LBB0_10
; %bb.1:
	s_load_dwordx4 s[8:11], s[4:5], 0x18
	s_load_dwordx4 s[0:3], s[4:5], 0x0
	v_mul_lo_u16_e32 v1, 21, v1
	v_sub_u16_e32 v20, v0, v1
	v_lshlrev_b32_e32 v23, 2, v20
	s_waitcnt lgkmcnt(0)
	s_load_dwordx4 s[16:19], s[8:9], 0x0
	global_load_dword v21, v23, s[0:1]
	s_mov_b32 s12, 0xffff
	s_load_dwordx2 s[4:5], s[4:5], 0x38
                                        ; implicit-def: $vgpr30
                                        ; implicit-def: $vgpr31
                                        ; implicit-def: $vgpr29
                                        ; implicit-def: $vgpr32
                                        ; implicit-def: $vgpr33
                                        ; implicit-def: $vgpr16
	s_waitcnt lgkmcnt(0)
	v_mad_u64_u32 v[0:1], s[6:7], s18, v4, 0
	v_mad_u64_u32 v[2:3], s[6:7], s16, v20, 0
	s_mul_i32 s8, s17, 0x54
	v_mad_u64_u32 v[5:6], s[6:7], s19, v4, v[1:2]
	v_mad_u64_u32 v[6:7], s[6:7], s17, v20, v[3:4]
	v_mov_b32_e32 v1, v5
	v_lshlrev_b64 v[0:1], 2, v[0:1]
	v_mov_b32_e32 v7, s15
	v_mov_b32_e32 v3, v6
	v_add_co_u32_e32 v5, vcc, s14, v0
	v_addc_co_u32_e32 v6, vcc, v7, v1, vcc
	v_lshlrev_b64 v[0:1], 2, v[2:3]
	v_mov_b32_e32 v3, 0x54
	v_add_co_u32_e32 v0, vcc, v5, v0
	v_addc_co_u32_e32 v1, vcc, v6, v1, vcc
	global_load_dword v2, v[0:1], off
	v_mad_u64_u32 v[0:1], s[6:7], s16, v3, v[0:1]
	v_add_u32_e32 v1, s8, v1
	global_load_dword v18, v23, s[0:1] offset:84
	global_load_dword v5, v[0:1], off
	v_mad_u64_u32 v[0:1], s[6:7], s16, v3, v[0:1]
	s_mov_b32 s6, 0xaaaaaaab
	s_movk_i32 s7, 0x3aee
	v_add_u32_e32 v1, s8, v1
	global_load_dword v3, v[0:1], off
	global_load_dword v17, v23, s[0:1] offset:168
	v_mul_hi_u32 v0, v4, s6
	v_mul_lo_u16_e32 v1, 3, v20
	s_movk_i32 s8, 0xab
	v_mul_lo_u16_sdwa v6, v20, s8 dst_sel:DWORD dst_unused:UNUSED_PAD src0_sel:BYTE_0 src1_sel:DWORD
	v_lshrrev_b32_e32 v0, 3, v0
	v_mul_lo_u32 v0, v0, 12
	s_load_dwordx4 s[8:11], s[10:11], 0x0
	v_lshrrev_b16_e32 v7, 9, v6
	v_mul_lo_u16_e32 v6, 3, v7
	v_sub_u32_e32 v0, v4, v0
	v_mul_u32_u24_e32 v0, 63, v0
	v_lshlrev_b32_e32 v22, 2, v0
	v_lshl_add_u32 v24, v1, 2, v22
	v_add_u32_e32 v19, v23, v22
	v_sub_u16_e32 v8, v20, v6
	v_lshlrev_b16_e32 v6, 1, v8
	v_and_b32_e32 v6, 0xfe, v6
	v_lshlrev_b32_e32 v6, 2, v6
	s_mov_b32 s6, 0xbaee
	s_waitcnt vmcnt(4)
	v_lshrrev_b32_e32 v0, 16, v2
	v_mul_f16_sdwa v1, v21, v2 dst_sel:DWORD dst_unused:UNUSED_PAD src0_sel:WORD_1 src1_sel:DWORD
	v_mul_f16_sdwa v9, v21, v0 dst_sel:DWORD dst_unused:UNUSED_PAD src0_sel:WORD_1 src1_sel:DWORD
	v_fma_f16 v0, v21, v0, -v1
	v_fma_f16 v1, v21, v2, v9
	v_pack_b32_f16 v0, v1, v0
	s_waitcnt vmcnt(2)
	v_lshrrev_b32_e32 v1, 16, v5
	v_mul_f16_sdwa v2, v18, v5 dst_sel:DWORD dst_unused:UNUSED_PAD src0_sel:WORD_1 src1_sel:DWORD
	v_mul_f16_sdwa v9, v18, v1 dst_sel:DWORD dst_unused:UNUSED_PAD src0_sel:WORD_1 src1_sel:DWORD
	v_fma_f16 v1, v18, v1, -v2
	v_fma_f16 v2, v18, v5, v9
	v_pack_b32_f16 v1, v2, v1
	ds_write2_b32 v19, v0, v1 offset1:21
	s_waitcnt vmcnt(1)
	v_lshrrev_b32_e32 v0, 16, v3
	s_waitcnt vmcnt(0)
	v_mul_f16_sdwa v1, v17, v3 dst_sel:DWORD dst_unused:UNUSED_PAD src0_sel:WORD_1 src1_sel:DWORD
	v_mul_f16_sdwa v2, v17, v0 dst_sel:DWORD dst_unused:UNUSED_PAD src0_sel:WORD_1 src1_sel:DWORD
	v_fma_f16 v0, v17, v0, -v1
	v_fma_f16 v1, v17, v3, v2
	v_pack_b32_f16 v0, v1, v0
	ds_write_b32 v19, v0 offset:168
	s_waitcnt lgkmcnt(0)
	s_barrier
	ds_read2_b32 v[0:1], v19 offset1:21
	ds_read_b32 v2, v19 offset:168
	s_waitcnt lgkmcnt(0)
	s_barrier
	v_pk_add_f16 v3, v0, v1
	v_pk_add_f16 v5, v1, v2
	v_pk_add_f16 v1, v1, v2 neg_lo:[0,1] neg_hi:[0,1]
	v_pk_fma_f16 v0, v5, -0.5, v0 op_sel_hi:[1,0,1]
	v_pk_mul_f16 v1, v1, s7 op_sel_hi:[1,0]
	v_pk_add_f16 v2, v3, v2
	v_pk_add_f16 v3, v0, v1 op_sel:[0,1] op_sel_hi:[1,0]
	v_pk_add_f16 v0, v0, v1 op_sel:[0,1] op_sel_hi:[1,0] neg_lo:[0,1] neg_hi:[0,1]
	v_bfi_b32 v1, s12, v3, v0
	v_bfi_b32 v0, s12, v0, v3
	ds_write2_b32 v24, v2, v1 offset1:1
	ds_write_b32 v24, v0 offset:8
	s_waitcnt lgkmcnt(0)
	s_barrier
	global_load_dwordx2 v[5:6], v6, s[2:3]
	v_mov_b32_e32 v0, s1
	v_mad_legacy_u16 v1, v7, 9, v8
	v_add_co_u32_e32 v9, vcc, s0, v23
	v_addc_co_u32_e32 v10, vcc, 0, v0, vcc
	v_and_b32_e32 v0, 0xff, v1
	v_lshl_add_u32 v25, v0, 2, v22
	ds_read2_b32 v[0:1], v19 offset1:21
	ds_read_b32 v2, v19 offset:168
	v_cmp_gt_u16_e32 vcc, 9, v20
	s_waitcnt vmcnt(0) lgkmcnt(0)
	s_barrier
	v_lshrrev_b32_e32 v3, 16, v1
	v_lshrrev_b32_e32 v7, 16, v2
	;; [unrolled: 1-line block ×3, first 2 shown]
	v_mul_f16_sdwa v11, v3, v5 dst_sel:DWORD dst_unused:UNUSED_PAD src0_sel:DWORD src1_sel:WORD_1
	v_mul_f16_sdwa v12, v1, v5 dst_sel:DWORD dst_unused:UNUSED_PAD src0_sel:DWORD src1_sel:WORD_1
	;; [unrolled: 1-line block ×4, first 2 shown]
	v_fma_f16 v3, v3, v5, v12
	v_fma_f16 v2, v2, v6, -v13
	v_fma_f16 v1, v1, v5, -v11
	v_fma_f16 v7, v7, v6, v14
	v_add_f16_e32 v11, v1, v2
	v_sub_f16_e32 v13, v3, v7
	v_add_f16_e32 v14, v8, v3
	v_add_f16_e32 v3, v3, v7
	;; [unrolled: 1-line block ×3, first 2 shown]
	v_sub_f16_e32 v1, v1, v2
	v_fma_f16 v0, v11, -0.5, v0
	v_fma_f16 v3, v3, -0.5, v8
	v_add_f16_e32 v26, v14, v7
	v_add_f16_e32 v11, v12, v2
	v_fma_f16 v12, v13, s7, v0
	v_fma_f16 v27, v1, s6, v3
	v_pack_b32_f16 v2, v11, v26
	v_fma_f16 v28, v1, s7, v3
	v_fma_f16 v13, v13, s6, v0
	v_pack_b32_f16 v0, v12, v27
	v_pack_b32_f16 v1, v13, v28
	ds_write2_b32 v25, v2, v0 offset1:3
	ds_write_b32 v25, v1 offset:24
	s_waitcnt lgkmcnt(0)
	s_barrier
	s_and_saveexec_b64 s[6:7], vcc
	s_cbranch_execz .LBB0_3
; %bb.2:
	ds_read2_b32 v[11:12], v19 offset1:9
	ds_read2_b32 v[13:14], v19 offset0:18 offset1:27
	ds_read2_b32 v[15:16], v19 offset0:36 offset1:45
	ds_read_b32 v29, v19 offset:216
	s_waitcnt lgkmcnt(3)
	v_lshrrev_b32_e32 v26, 16, v11
	v_lshrrev_b32_e32 v27, 16, v12
	s_waitcnt lgkmcnt(2)
	v_lshrrev_b32_e32 v28, 16, v13
	v_lshrrev_b32_e32 v30, 16, v14
	;; [unrolled: 3-line block ×3, first 2 shown]
	s_waitcnt lgkmcnt(0)
	v_lshrrev_b32_e32 v32, 16, v29
.LBB0_3:
	s_or_b64 exec, exec, s[6:7]
	v_mov_b32_e32 v0, 57
	v_mul_lo_u16_sdwa v0, v20, v0 dst_sel:DWORD dst_unused:UNUSED_PAD src0_sel:BYTE_0 src1_sel:DWORD
	v_lshrrev_b16_e32 v0, 9, v0
	v_mul_lo_u16_e32 v0, 9, v0
	v_sub_u16_e32 v0, v20, v0
	v_mul_lo_u16_e32 v0, 6, v0
	v_and_b32_e32 v0, 0xfe, v0
	v_lshlrev_b32_e32 v34, 2, v0
	global_load_dwordx4 v[0:3], v34, s[2:3] offset:24
	global_load_dwordx2 v[7:8], v34, s[2:3] offset:40
	s_movk_i32 s2, 0x2b26
	s_movk_i32 s3, 0x39e0
	s_mov_b32 s6, 0xb9e0
	s_mov_b32 s14, 0xbcab
	s_movk_i32 s7, 0x3b00
	s_movk_i32 s12, 0x3574
	s_mov_b32 s13, 0xb574
	s_waitcnt vmcnt(1)
	v_mul_f16_sdwa v34, v28, v1 dst_sel:DWORD dst_unused:UNUSED_PAD src0_sel:DWORD src1_sel:WORD_1
	s_waitcnt vmcnt(0)
	v_mul_f16_sdwa v39, v31, v7 dst_sel:DWORD dst_unused:UNUSED_PAD src0_sel:DWORD src1_sel:WORD_1
	v_mul_f16_sdwa v43, v27, v0 dst_sel:DWORD dst_unused:UNUSED_PAD src0_sel:DWORD src1_sel:WORD_1
	;; [unrolled: 1-line block ×11, first 2 shown]
	v_fma_f16 v13, v13, v1, -v34
	v_fma_f16 v16, v16, v7, -v39
	;; [unrolled: 1-line block ×6, first 2 shown]
	v_fma_f16 v28, v28, v1, v35
	v_fma_f16 v30, v30, v2, v37
	;; [unrolled: 1-line block ×6, first 2 shown]
	v_add_f16_e32 v34, v12, v29
	v_sub_f16_e32 v12, v12, v29
	v_add_f16_e32 v29, v13, v16
	v_add_f16_e32 v35, v27, v32
	v_sub_f16_e32 v27, v27, v32
	v_add_f16_e32 v32, v28, v31
	v_sub_f16_e32 v13, v13, v16
	v_sub_f16_e32 v16, v28, v31
	v_add_f16_e32 v28, v14, v15
	v_add_f16_e32 v31, v30, v33
	v_sub_f16_e32 v14, v15, v14
	v_sub_f16_e32 v15, v33, v30
	v_add_f16_e32 v30, v29, v34
	v_sub_f16_e32 v33, v29, v34
	v_sub_f16_e32 v34, v34, v28
	;; [unrolled: 1-line block ×3, first 2 shown]
	v_add_f16_e32 v36, v32, v35
	v_add_f16_e32 v30, v28, v30
	v_sub_f16_e32 v37, v32, v35
	v_sub_f16_e32 v35, v35, v31
	;; [unrolled: 1-line block ×3, first 2 shown]
	v_add_f16_e32 v38, v14, v13
	v_sub_f16_e32 v39, v14, v13
	v_add_f16_e32 v36, v31, v36
	v_mul_f16_e32 v31, 0x3a52, v34
	v_mul_f16_e32 v34, 0x2b26, v29
	v_add_f16_e32 v28, v11, v30
	v_sub_f16_e32 v14, v12, v14
	v_sub_f16_e32 v13, v13, v12
	v_add_f16_e32 v40, v15, v16
	v_sub_f16_e32 v41, v15, v16
	v_sub_f16_e32 v16, v16, v27
	v_add_f16_e32 v12, v38, v12
	v_mul_f16_e32 v35, 0x3a52, v35
	v_mul_f16_e32 v38, 0x2b26, v32
	;; [unrolled: 1-line block ×3, first 2 shown]
	v_fma_f16 v11, v29, s2, v31
	v_fma_f16 v34, v33, s3, -v34
	v_fma_f16 v31, v33, s6, -v31
	v_fma_f16 v30, v30, s14, v28
	v_sub_f16_e32 v15, v27, v15
	v_add_f16_e32 v27, v40, v27
	v_mul_f16_e32 v40, 0x3b00, v13
	v_mul_f16_e32 v41, 0xb846, v41
	;; [unrolled: 1-line block ×3, first 2 shown]
	v_fma_f16 v32, v32, s2, v35
	v_fma_f16 v33, v37, s3, -v38
	v_fma_f16 v35, v37, s6, -v35
	;; [unrolled: 1-line block ×3, first 2 shown]
	v_fma_f16 v37, v14, s12, v39
	v_add_f16_e32 v29, v11, v30
	v_add_f16_e32 v39, v34, v30
	;; [unrolled: 1-line block ×4, first 2 shown]
	v_fma_f16 v14, v14, s13, -v40
	v_fma_f16 v16, v16, s7, -v41
	v_fma_f16 v38, v15, s12, v41
	v_fma_f16 v15, v15, s13, -v42
	v_fma_f16 v11, v36, s14, v30
	s_movk_i32 s2, 0x370e
	v_add_f16_e32 v32, v32, v11
	v_add_f16_e32 v26, v33, v11
	;; [unrolled: 1-line block ×3, first 2 shown]
	v_fma_f16 v34, v12, s2, v37
	v_fma_f16 v35, v27, s2, v38
	;; [unrolled: 1-line block ×6, first 2 shown]
	v_sub_f16_e32 v11, v39, v16
	v_add_f16_e32 v15, v13, v26
	v_add_f16_e32 v12, v16, v39
	v_sub_f16_e32 v16, v26, v13
	v_sub_f16_e32 v13, v31, v37
	v_add_f16_e32 v14, v36, v33
	v_sub_f16_e32 v26, v29, v35
	v_add_f16_e32 v27, v34, v32
	s_and_saveexec_b64 s[2:3], vcc
	s_cbranch_execz .LBB0_5
; %bb.4:
	s_mov_b32 s6, 0x5040100
	v_sub_f16_e32 v33, v33, v36
	v_add_f16_e32 v31, v37, v31
	v_sub_f16_e32 v32, v32, v34
	v_add_f16_e32 v29, v35, v29
	v_perm_b32 v28, v30, v28, s6
	ds_write_b32 v19, v28
	v_lshl_add_u32 v28, v20, 2, v22
	v_pack_b32_f16 v29, v29, v32
	v_pack_b32_f16 v30, v31, v33
	ds_write2_b32 v28, v29, v30 offset0:9 offset1:18
	v_perm_b32 v29, v15, v11, s6
	v_perm_b32 v30, v16, v12, s6
	ds_write2_b32 v28, v29, v30 offset0:27 offset1:36
	v_perm_b32 v29, v14, v13, s6
	v_perm_b32 v30, v27, v26, s6
	ds_write2_b32 v28, v29, v30 offset0:45 offset1:54
.LBB0_5:
	s_or_b64 exec, exec, s[2:3]
	s_waitcnt lgkmcnt(0)
	s_barrier
	global_load_dword v28, v[9:10], off offset:252
	s_add_u32 s0, s0, 0xfc
	s_addc_u32 s1, s1, 0
	global_load_dword v29, v23, s[0:1] offset:84
	global_load_dword v30, v23, s[0:1] offset:168
	ds_read2_b32 v[9:10], v19 offset1:21
	ds_read_b32 v23, v19 offset:168
	s_movk_i32 s0, 0x3aee
	s_mov_b32 s1, 0xffff
	s_mov_b32 s2, 0xbaee
	s_waitcnt lgkmcnt(1)
	v_lshrrev_b32_e32 v31, 16, v9
	v_lshrrev_b32_e32 v32, 16, v10
	s_waitcnt lgkmcnt(0)
	v_lshrrev_b32_e32 v33, 16, v23
	s_waitcnt vmcnt(2)
	v_mul_f16_sdwa v34, v31, v28 dst_sel:DWORD dst_unused:UNUSED_PAD src0_sel:DWORD src1_sel:WORD_1
	v_mul_f16_sdwa v35, v9, v28 dst_sel:DWORD dst_unused:UNUSED_PAD src0_sel:DWORD src1_sel:WORD_1
	v_fma_f16 v9, v9, v28, -v34
	v_fma_f16 v28, v31, v28, v35
	v_pack_b32_f16 v9, v9, v28
	s_waitcnt vmcnt(1)
	v_mul_f16_sdwa v28, v32, v29 dst_sel:DWORD dst_unused:UNUSED_PAD src0_sel:DWORD src1_sel:WORD_1
	v_mul_f16_sdwa v31, v10, v29 dst_sel:DWORD dst_unused:UNUSED_PAD src0_sel:DWORD src1_sel:WORD_1
	s_waitcnt vmcnt(0)
	v_mul_f16_sdwa v34, v33, v30 dst_sel:DWORD dst_unused:UNUSED_PAD src0_sel:DWORD src1_sel:WORD_1
	v_mul_f16_sdwa v35, v23, v30 dst_sel:DWORD dst_unused:UNUSED_PAD src0_sel:DWORD src1_sel:WORD_1
	v_fma_f16 v10, v10, v29, -v28
	v_fma_f16 v28, v32, v29, v31
	v_fma_f16 v23, v23, v30, -v34
	v_fma_f16 v29, v33, v30, v35
	v_pack_b32_f16 v10, v10, v28
	v_pack_b32_f16 v23, v23, v29
	ds_write2_b32 v19, v9, v10 offset1:21
	ds_write_b32 v19, v23 offset:168
	s_waitcnt lgkmcnt(0)
	s_barrier
	ds_read2_b32 v[9:10], v19 offset1:21
	ds_read_b32 v23, v19 offset:168
	s_waitcnt lgkmcnt(0)
	s_barrier
	v_pk_add_f16 v28, v9, v10
	v_pk_add_f16 v29, v10, v23
	v_pk_add_f16 v10, v10, v23 neg_lo:[0,1] neg_hi:[0,1]
	v_pk_fma_f16 v9, v29, -0.5, v9 op_sel_hi:[1,0,1]
	v_pk_mul_f16 v10, v10, s0 op_sel_hi:[1,0]
	v_pk_add_f16 v23, v28, v23
	v_pk_add_f16 v28, v9, v10 op_sel:[0,1] op_sel_hi:[1,0] neg_lo:[0,1] neg_hi:[0,1]
	v_pk_add_f16 v9, v9, v10 op_sel:[0,1] op_sel_hi:[1,0]
	v_bfi_b32 v10, s1, v28, v9
	v_bfi_b32 v9, s1, v9, v28
	ds_write2_b32 v24, v23, v10 offset1:1
	ds_write_b32 v24, v9 offset:8
	s_waitcnt lgkmcnt(0)
	s_barrier
	ds_read2_b32 v[23:24], v19 offset1:21
	ds_read_b32 v9, v19 offset:168
	s_waitcnt lgkmcnt(0)
	s_barrier
	v_lshrrev_b32_e32 v28, 16, v24
	v_lshrrev_b32_e32 v29, 16, v9
	v_mul_f16_sdwa v30, v5, v24 dst_sel:DWORD dst_unused:UNUSED_PAD src0_sel:WORD_1 src1_sel:DWORD
	v_mul_f16_sdwa v31, v6, v9 dst_sel:DWORD dst_unused:UNUSED_PAD src0_sel:WORD_1 src1_sel:DWORD
	v_mul_f16_sdwa v32, v5, v28 dst_sel:DWORD dst_unused:UNUSED_PAD src0_sel:WORD_1 src1_sel:DWORD
	v_fma_f16 v28, v5, v28, -v30
	v_mul_f16_sdwa v30, v6, v29 dst_sel:DWORD dst_unused:UNUSED_PAD src0_sel:WORD_1 src1_sel:DWORD
	v_lshrrev_b32_e32 v10, 16, v23
	v_fma_f16 v29, v6, v29, -v31
	v_fma_f16 v5, v5, v24, v32
	v_fma_f16 v6, v6, v9, v30
	v_sub_f16_e32 v30, v28, v29
	v_add_f16_e32 v9, v10, v28
	v_add_f16_e32 v24, v28, v29
	;; [unrolled: 1-line block ×5, first 2 shown]
	v_fma_f16 v10, v24, -0.5, v10
	v_sub_f16_e32 v29, v5, v6
	v_add_f16_e32 v5, v28, v6
	v_fma_f16 v28, v31, -0.5, v23
	v_fma_f16 v24, v29, s0, v10
	v_fma_f16 v6, v30, s2, v28
	;; [unrolled: 1-line block ×4, first 2 shown]
	v_pack_b32_f16 v28, v5, v9
	v_pack_b32_f16 v29, v6, v24
	;; [unrolled: 1-line block ×3, first 2 shown]
	ds_write2_b32 v25, v28, v29 offset1:3
	ds_write_b32 v25, v30 offset:24
	s_waitcnt lgkmcnt(0)
	s_barrier
	s_and_saveexec_b64 s[0:1], vcc
	s_cbranch_execz .LBB0_7
; %bb.6:
	ds_read2_b32 v[5:6], v19 offset1:9
	ds_read2_b32 v[10:11], v19 offset0:18 offset1:27
	ds_read2_b32 v[12:13], v19 offset0:36 offset1:45
	ds_read_b32 v26, v19 offset:216
	s_waitcnt lgkmcnt(3)
	v_lshrrev_b32_e32 v9, 16, v5
	v_lshrrev_b32_e32 v24, 16, v6
	s_waitcnt lgkmcnt(2)
	v_lshrrev_b32_e32 v23, 16, v10
	v_lshrrev_b32_e32 v15, 16, v11
	;; [unrolled: 3-line block ×3, first 2 shown]
	s_waitcnt lgkmcnt(0)
	v_lshrrev_b32_e32 v27, 16, v26
.LBB0_7:
	s_or_b64 exec, exec, s[0:1]
	s_and_saveexec_b64 s[0:1], vcc
	s_cbranch_execz .LBB0_9
; %bb.8:
	v_mul_f16_sdwa v31, v2, v15 dst_sel:DWORD dst_unused:UNUSED_PAD src0_sel:WORD_1 src1_sel:DWORD
	v_mul_f16_sdwa v25, v0, v24 dst_sel:DWORD dst_unused:UNUSED_PAD src0_sel:WORD_1 src1_sel:DWORD
	;; [unrolled: 1-line block ×4, first 2 shown]
	v_fma_f16 v31, v2, v11, v31
	v_mul_f16_sdwa v34, v1, v23 dst_sel:DWORD dst_unused:UNUSED_PAD src0_sel:WORD_1 src1_sel:DWORD
	v_mul_f16_sdwa v11, v2, v11 dst_sel:DWORD dst_unused:UNUSED_PAD src0_sel:WORD_1 src1_sel:DWORD
	v_fma_f16 v25, v0, v6, v25
	v_fma_f16 v28, v8, v26, v28
	;; [unrolled: 1-line block ×4, first 2 shown]
	v_mul_f16_sdwa v35, v7, v14 dst_sel:DWORD dst_unused:UNUSED_PAD src0_sel:WORD_1 src1_sel:DWORD
	v_mul_f16_sdwa v26, v8, v26 dst_sel:DWORD dst_unused:UNUSED_PAD src0_sel:WORD_1 src1_sel:DWORD
	;; [unrolled: 1-line block ×3, first 2 shown]
	v_fma_f16 v2, v2, v15, -v11
	v_mul_f16_sdwa v11, v3, v12 dst_sel:DWORD dst_unused:UNUSED_PAD src0_sel:WORD_1 src1_sel:DWORD
	v_mul_f16_sdwa v12, v7, v13 dst_sel:DWORD dst_unused:UNUSED_PAD src0_sel:WORD_1 src1_sel:DWORD
	;; [unrolled: 1-line block ×3, first 2 shown]
	v_fma_f16 v35, v7, v13, v35
	v_fma_f16 v8, v8, v27, -v26
	v_fma_f16 v0, v0, v24, -v6
	;; [unrolled: 1-line block ×5, first 2 shown]
	v_sub_f16_e32 v29, v25, v28
	v_sub_f16_e32 v32, v30, v31
	;; [unrolled: 1-line block ×3, first 2 shown]
	v_add_f16_e32 v6, v8, v0
	v_add_f16_e32 v11, v2, v3
	;; [unrolled: 1-line block ×6, first 2 shown]
	v_sub_f16_e32 v0, v0, v8
	v_sub_f16_e32 v2, v3, v2
	;; [unrolled: 1-line block ×5, first 2 shown]
	v_add_f16_e32 v32, v32, v36
	v_sub_f16_e32 v13, v6, v11
	v_add_f16_e32 v15, v10, v6
	v_sub_f16_e32 v24, v16, v23
	;; [unrolled: 2-line block ×3, first 2 shown]
	v_sub_f16_e32 v7, v2, v1
	v_add_f16_e32 v2, v2, v1
	v_mul_f16_e32 v37, 0x3846, v37
	s_mov_b32 s2, 0xb574
	v_add_f16_e32 v32, v32, v29
	v_mul_f16_e32 v13, 0x3a52, v13
	v_sub_f16_e32 v12, v11, v10
	s_movk_i32 s6, 0x2b26
	v_add_f16_e32 v11, v11, v15
	v_mul_f16_e32 v24, 0x3a52, v24
	v_sub_f16_e32 v26, v23, v25
	v_add_f16_e32 v23, v23, v28
	v_mul_f16_e32 v7, 0x3846, v7
	v_add_f16_e32 v2, v2, v0
	v_sub_f16_e32 v29, v36, v29
	v_sub_f16_e32 v0, v1, v0
	v_fma_f16 v38, v33, s2, v37
	v_mul_f16_e32 v14, 0x2b26, v12
	v_fma_f16 v12, v12, s6, v13
	v_add_f16_e32 v9, v9, v11
	s_mov_b32 s7, 0xbcab
	v_mul_f16_e32 v27, 0x2b26, v26
	v_fma_f16 v26, v26, s6, v24
	v_add_f16_e32 v5, v5, v23
	v_fma_f16 v8, v3, s2, v7
	s_mov_b32 s2, 0xbb00
	v_mul_f16_e32 v30, 0xbb00, v29
	s_movk_i32 s6, 0x3574
	v_mul_f16_e32 v1, 0xbb00, v0
	s_mov_b32 s3, 0xb70e
	v_fma_f16 v11, v11, s7, v9
	v_fma_f16 v23, v23, s7, v5
	v_fma_f16 v30, v33, s6, -v30
	v_sub_f16_e32 v6, v10, v6
	s_mov_b32 s7, 0xb9e0
	v_sub_f16_e32 v16, v25, v16
	v_fma_f16 v1, v3, s6, -v1
	s_movk_i32 s6, 0x39e0
	v_fma_f16 v0, v0, s2, -v7
	v_fma_f16 v8, v2, s3, v8
	v_fma_f16 v10, v6, s7, -v13
	v_fma_f16 v24, v16, s7, -v24
	v_fma_f16 v1, v2, s3, v1
	v_fma_f16 v6, v6, s6, -v14
	v_fma_f16 v0, v2, s3, v0
	;; [unrolled: 2-line block ×3, first 2 shown]
	v_add_f16_e32 v12, v12, v11
	v_add_f16_e32 v26, v26, v23
	v_fma_f16 v30, v32, s3, v30
	v_add_f16_e32 v10, v10, v11
	v_add_f16_e32 v24, v24, v23
	;; [unrolled: 1-line block ×3, first 2 shown]
	v_fma_f16 v11, v29, s2, -v37
	v_add_f16_e32 v2, v2, v23
	v_sub_f16_e32 v28, v26, v8
	v_add_f16_e32 v13, v30, v10
	v_sub_f16_e32 v3, v24, v1
	v_fma_f16 v11, v32, s3, v11
	v_add_f16_e32 v7, v0, v2
	v_sub_f16_e32 v0, v2, v0
	v_sub_f16_e32 v2, v10, v30
	v_add_f16_e32 v1, v1, v24
	v_sub_f16_e32 v10, v12, v38
	v_add_f16_e32 v8, v8, v26
	v_pack_b32_f16 v5, v5, v9
	v_sub_f16_e32 v14, v6, v11
	v_add_f16_e32 v6, v11, v6
	ds_write_b32 v19, v5
	v_lshl_add_u32 v5, v20, 2, v22
	v_pack_b32_f16 v8, v8, v10
	v_pack_b32_f16 v1, v1, v2
	v_add_f16_e32 v15, v38, v12
	ds_write2_b32 v5, v8, v1 offset0:9 offset1:18
	v_pack_b32_f16 v0, v0, v6
	v_pack_b32_f16 v1, v7, v14
	ds_write2_b32 v5, v0, v1 offset0:27 offset1:36
	v_pack_b32_f16 v0, v3, v13
	v_pack_b32_f16 v1, v28, v15
	ds_write2_b32 v5, v0, v1 offset0:45 offset1:54
.LBB0_9:
	s_or_b64 exec, exec, s[0:1]
	s_waitcnt lgkmcnt(0)
	s_barrier
	ds_read2_b32 v[0:1], v19 offset1:21
	s_mov_b32 s2, 0x10410410
	s_mov_b32 s3, 0x3f904104
	v_mad_u64_u32 v[5:6], s[0:1], s10, v4, 0
	s_waitcnt lgkmcnt(0)
	v_lshrrev_b32_e32 v8, 16, v0
	v_mul_f16_sdwa v2, v21, v8 dst_sel:DWORD dst_unused:UNUSED_PAD src0_sel:WORD_1 src1_sel:DWORD
	v_fma_f16 v2, v21, v0, v2
	v_cvt_f32_f16_e32 v2, v2
	s_movk_i32 s6, 0x1ff
	v_mad_u64_u32 v[6:7], s[0:1], s11, v4, v[6:7]
	v_cvt_f64_f32_e32 v[2:3], v2
	s_movk_i32 s7, 0xffe
	v_mul_f16_sdwa v0, v21, v0 dst_sel:DWORD dst_unused:UNUSED_PAD src0_sel:WORD_1 src1_sel:DWORD
	v_fma_f16 v0, v21, v8, -v0
	v_mul_f64 v[2:3], v[2:3], s[2:3]
	v_cvt_f32_f16_e32 v0, v0
	s_movk_i32 s11, 0x40f
	s_mov_b32 s10, 0x8000
	v_and_or_b32 v2, v3, s6, v2
	v_cmp_ne_u32_e32 vcc, 0, v2
	v_lshrrev_b32_e32 v4, 8, v3
	v_bfe_u32 v7, v3, 20, 11
	v_cndmask_b32_e64 v2, 0, 1, vcc
	v_sub_u32_e32 v9, 0x3f1, v7
	v_and_or_b32 v2, v4, s7, v2
	v_or_b32_e32 v4, 0x1000, v2
	v_med3_i32 v9, v9, 0, 13
	v_lshrrev_b32_e32 v10, v9, v4
	v_lshlrev_b32_e32 v9, v9, v10
	v_cmp_ne_u32_e32 vcc, v9, v4
	v_cndmask_b32_e64 v4, 0, 1, vcc
	v_add_u32_e32 v9, 0xfffffc10, v7
	v_or_b32_e32 v4, v10, v4
	v_lshl_or_b32 v7, v9, 12, v2
	v_cmp_gt_i32_e32 vcc, 1, v9
	v_cndmask_b32_e32 v4, v7, v4, vcc
	v_and_b32_e32 v7, 7, v4
	v_cmp_lt_i32_e32 vcc, 5, v7
	v_cmp_eq_u32_e64 s[0:1], 3, v7
	v_cvt_f64_f32_e32 v[7:8], v0
	v_lshrrev_b32_e32 v4, 2, v4
	s_or_b64 vcc, s[0:1], vcc
	v_addc_co_u32_e32 v4, vcc, 0, v4, vcc
	v_mul_f64 v[7:8], v[7:8], s[2:3]
	v_mov_b32_e32 v10, 0x7c00
	v_cmp_gt_i32_e32 vcc, 31, v9
	v_cndmask_b32_e32 v0, v10, v4, vcc
	v_cmp_ne_u32_e32 vcc, 0, v2
	v_cndmask_b32_e64 v2, 0, 1, vcc
	v_lshl_or_b32 v2, v2, 9, v10
	v_cmp_eq_u32_e32 vcc, s11, v9
	v_cndmask_b32_e32 v0, v0, v2, vcc
	v_lshrrev_b32_e32 v2, 16, v3
	v_and_or_b32 v9, v2, s10, v0
	v_and_or_b32 v0, v8, s6, v7
	v_cmp_ne_u32_e32 vcc, 0, v0
	v_cndmask_b32_e64 v0, 0, 1, vcc
	v_lshrrev_b32_e32 v2, 8, v8
	v_bfe_u32 v3, v8, 20, 11
	v_and_or_b32 v0, v2, s7, v0
	v_sub_u32_e32 v4, 0x3f1, v3
	v_or_b32_e32 v2, 0x1000, v0
	v_med3_i32 v4, v4, 0, 13
	v_lshrrev_b32_e32 v7, v4, v2
	v_lshlrev_b32_e32 v4, v4, v7
	v_cmp_ne_u32_e32 vcc, v4, v2
	v_cndmask_b32_e64 v2, 0, 1, vcc
	v_add_u32_e32 v4, 0xfffffc10, v3
	v_or_b32_e32 v2, v7, v2
	v_lshl_or_b32 v3, v4, 12, v0
	v_cmp_gt_i32_e32 vcc, 1, v4
	v_cndmask_b32_e32 v2, v3, v2, vcc
	v_and_b32_e32 v3, 7, v2
	v_cmp_lt_i32_e32 vcc, 5, v3
	v_cmp_eq_u32_e64 s[0:1], 3, v3
	v_lshrrev_b32_e32 v2, 2, v2
	s_or_b64 vcc, s[0:1], vcc
	v_addc_co_u32_e32 v2, vcc, 0, v2, vcc
	v_cmp_gt_i32_e32 vcc, 31, v4
	v_cndmask_b32_e32 v7, v10, v2, vcc
	v_mad_u64_u32 v[2:3], s[0:1], s8, v20, 0
	v_cmp_ne_u32_e32 vcc, 0, v0
	v_cndmask_b32_e64 v0, 0, 1, vcc
	v_lshl_or_b32 v0, v0, 9, v10
	v_cmp_eq_u32_e32 vcc, s11, v4
	v_cndmask_b32_e32 v7, v7, v0, vcc
	v_mov_b32_e32 v0, v3
	v_mad_u64_u32 v[3:4], s[0:1], s9, v20, v[0:1]
	v_lshrrev_b32_e32 v0, 16, v1
	v_mul_f16_sdwa v4, v18, v0 dst_sel:DWORD dst_unused:UNUSED_PAD src0_sel:WORD_1 src1_sel:DWORD
	v_fma_f16 v4, v18, v1, v4
	v_cvt_f32_f16_e32 v4, v4
	v_lshrrev_b32_e32 v8, 16, v8
	v_and_or_b32 v11, v8, s10, v7
	v_and_b32_e32 v9, 0xffff, v9
	v_cvt_f64_f32_e32 v[7:8], v4
	v_lshlrev_b64 v[4:5], 2, v[5:6]
	v_lshl_or_b32 v9, v11, 16, v9
	v_mov_b32_e32 v11, s5
	v_mul_f64 v[6:7], v[7:8], s[2:3]
	v_add_co_u32_e32 v4, vcc, s4, v4
	v_lshlrev_b64 v[2:3], 2, v[2:3]
	v_addc_co_u32_e32 v5, vcc, v11, v5, vcc
	v_add_co_u32_e32 v2, vcc, v4, v2
	v_addc_co_u32_e32 v3, vcc, v5, v3, vcc
	v_and_or_b32 v4, v7, s6, v6
	v_mul_f16_sdwa v1, v18, v1 dst_sel:DWORD dst_unused:UNUSED_PAD src0_sel:WORD_1 src1_sel:DWORD
	v_cmp_ne_u32_e32 vcc, 0, v4
	v_fma_f16 v0, v18, v0, -v1
	v_cndmask_b32_e64 v4, 0, 1, vcc
	v_lshrrev_b32_e32 v5, 8, v7
	v_bfe_u32 v6, v7, 20, 11
	v_cvt_f32_f16_e32 v0, v0
	v_and_or_b32 v4, v5, s7, v4
	v_sub_u32_e32 v8, 0x3f1, v6
	v_or_b32_e32 v5, 0x1000, v4
	v_med3_i32 v8, v8, 0, 13
	global_store_dword v[2:3], v9, off
	v_lshrrev_b32_e32 v9, v8, v5
	v_lshlrev_b32_e32 v8, v8, v9
	v_cvt_f64_f32_e32 v[0:1], v0
	v_cmp_ne_u32_e32 vcc, v8, v5
	v_cndmask_b32_e64 v5, 0, 1, vcc
	v_add_u32_e32 v6, 0xfffffc10, v6
	v_or_b32_e32 v5, v9, v5
	v_lshl_or_b32 v8, v6, 12, v4
	v_cmp_gt_i32_e32 vcc, 1, v6
	v_cndmask_b32_e32 v5, v8, v5, vcc
	v_mul_f64 v[0:1], v[0:1], s[2:3]
	v_and_b32_e32 v8, 7, v5
	v_cmp_lt_i32_e32 vcc, 5, v8
	v_cmp_eq_u32_e64 s[0:1], 3, v8
	v_lshrrev_b32_e32 v5, 2, v5
	s_or_b64 vcc, s[0:1], vcc
	v_addc_co_u32_e32 v5, vcc, 0, v5, vcc
	v_cmp_gt_i32_e32 vcc, 31, v6
	v_cndmask_b32_e32 v5, v10, v5, vcc
	v_cmp_ne_u32_e32 vcc, 0, v4
	v_cndmask_b32_e64 v4, 0, 1, vcc
	v_lshl_or_b32 v4, v4, 9, v10
	v_cmp_eq_u32_e32 vcc, s11, v6
	v_and_or_b32 v0, v1, s6, v0
	v_cndmask_b32_e32 v4, v5, v4, vcc
	v_lshrrev_b32_e32 v5, 16, v7
	v_cmp_ne_u32_e32 vcc, 0, v0
	v_and_or_b32 v6, v5, s10, v4
	v_cndmask_b32_e64 v0, 0, 1, vcc
	v_lshrrev_b32_e32 v4, 8, v1
	v_bfe_u32 v5, v1, 20, 11
	v_and_or_b32 v0, v4, s7, v0
	v_sub_u32_e32 v7, 0x3f1, v5
	v_or_b32_e32 v4, 0x1000, v0
	v_med3_i32 v7, v7, 0, 13
	v_lshrrev_b32_e32 v8, v7, v4
	v_lshlrev_b32_e32 v7, v7, v8
	v_cmp_ne_u32_e32 vcc, v7, v4
	v_cndmask_b32_e64 v4, 0, 1, vcc
	v_add_u32_e32 v5, 0xfffffc10, v5
	v_or_b32_e32 v4, v8, v4
	v_lshl_or_b32 v7, v5, 12, v0
	v_cmp_gt_i32_e32 vcc, 1, v5
	v_cndmask_b32_e32 v4, v7, v4, vcc
	v_and_b32_e32 v7, 7, v4
	v_cmp_lt_i32_e32 vcc, 5, v7
	v_cmp_eq_u32_e64 s[0:1], 3, v7
	ds_read_b32 v7, v19 offset:168
	v_lshrrev_b32_e32 v4, 2, v4
	s_or_b64 vcc, s[0:1], vcc
	v_addc_co_u32_e32 v4, vcc, 0, v4, vcc
	s_waitcnt lgkmcnt(0)
	v_lshrrev_b32_e32 v8, 16, v7
	v_mul_f16_sdwa v9, v17, v8 dst_sel:DWORD dst_unused:UNUSED_PAD src0_sel:WORD_1 src1_sel:DWORD
	v_fma_f16 v9, v17, v7, v9
	v_cmp_gt_i32_e32 vcc, 31, v5
	v_cvt_f32_f16_e32 v9, v9
	v_cndmask_b32_e32 v4, v10, v4, vcc
	v_cmp_ne_u32_e32 vcc, 0, v0
	v_cndmask_b32_e64 v0, 0, 1, vcc
	v_lshl_or_b32 v0, v0, 9, v10
	v_cmp_eq_u32_e32 vcc, s11, v5
	v_cndmask_b32_e32 v0, v4, v0, vcc
	v_cvt_f64_f32_e32 v[4:5], v9
	v_lshrrev_b32_e32 v1, 16, v1
	v_and_or_b32 v9, v1, s10, v0
	v_mov_b32_e32 v11, 0x54
	v_mul_f64 v[0:1], v[4:5], s[2:3]
	v_mad_u64_u32 v[2:3], s[0:1], s8, v11, v[2:3]
	v_and_b32_e32 v4, 0xffff, v6
	s_mul_i32 s4, s9, 0x54
	v_lshl_or_b32 v4, v9, 16, v4
	v_add_u32_e32 v3, s4, v3
	global_store_dword v[2:3], v4, off
	v_and_or_b32 v0, v1, s6, v0
	v_cmp_ne_u32_e32 vcc, 0, v0
	v_cndmask_b32_e64 v0, 0, 1, vcc
	v_lshrrev_b32_e32 v4, 8, v1
	v_bfe_u32 v5, v1, 20, 11
	v_and_or_b32 v0, v4, s7, v0
	v_sub_u32_e32 v6, 0x3f1, v5
	v_or_b32_e32 v4, 0x1000, v0
	v_med3_i32 v6, v6, 0, 13
	v_lshrrev_b32_e32 v9, v6, v4
	v_lshlrev_b32_e32 v6, v6, v9
	v_mul_f16_sdwa v7, v17, v7 dst_sel:DWORD dst_unused:UNUSED_PAD src0_sel:WORD_1 src1_sel:DWORD
	v_cmp_ne_u32_e32 vcc, v6, v4
	v_fma_f16 v7, v17, v8, -v7
	v_cndmask_b32_e64 v4, 0, 1, vcc
	v_add_u32_e32 v6, 0xfffffc10, v5
	v_cvt_f32_f16_e32 v7, v7
	v_or_b32_e32 v4, v9, v4
	v_lshl_or_b32 v5, v6, 12, v0
	v_cmp_gt_i32_e32 vcc, 1, v6
	v_cndmask_b32_e32 v4, v5, v4, vcc
	v_and_b32_e32 v5, 7, v4
	v_cmp_lt_i32_e32 vcc, 5, v5
	v_cmp_eq_u32_e64 s[0:1], 3, v5
	v_lshrrev_b32_e32 v8, 2, v4
	v_cvt_f64_f32_e32 v[4:5], v7
	s_or_b64 vcc, s[0:1], vcc
	v_addc_co_u32_e32 v7, vcc, 0, v8, vcc
	v_mul_f64 v[4:5], v[4:5], s[2:3]
	v_cmp_gt_i32_e32 vcc, 31, v6
	v_cndmask_b32_e32 v7, v10, v7, vcc
	v_cmp_ne_u32_e32 vcc, 0, v0
	v_cndmask_b32_e64 v0, 0, 1, vcc
	v_lshl_or_b32 v0, v0, 9, v10
	v_cmp_eq_u32_e32 vcc, s11, v6
	v_cndmask_b32_e32 v0, v7, v0, vcc
	v_lshrrev_b32_e32 v1, 16, v1
	v_and_or_b32 v6, v1, s10, v0
	v_and_or_b32 v0, v5, s6, v4
	v_cmp_ne_u32_e32 vcc, 0, v0
	v_cndmask_b32_e64 v0, 0, 1, vcc
	v_lshrrev_b32_e32 v1, 8, v5
	v_bfe_u32 v4, v5, 20, 11
	v_and_or_b32 v0, v1, s7, v0
	v_sub_u32_e32 v7, 0x3f1, v4
	v_or_b32_e32 v1, 0x1000, v0
	v_med3_i32 v7, v7, 0, 13
	v_lshrrev_b32_e32 v8, v7, v1
	v_lshlrev_b32_e32 v7, v7, v8
	v_cmp_ne_u32_e32 vcc, v7, v1
	v_cndmask_b32_e64 v1, 0, 1, vcc
	v_add_u32_e32 v4, 0xfffffc10, v4
	v_or_b32_e32 v1, v8, v1
	v_lshl_or_b32 v7, v4, 12, v0
	v_cmp_gt_i32_e32 vcc, 1, v4
	v_cndmask_b32_e32 v1, v7, v1, vcc
	v_and_b32_e32 v7, 7, v1
	v_cmp_lt_i32_e32 vcc, 5, v7
	v_cmp_eq_u32_e64 s[0:1], 3, v7
	v_lshrrev_b32_e32 v1, 2, v1
	s_or_b64 vcc, s[0:1], vcc
	v_addc_co_u32_e32 v1, vcc, 0, v1, vcc
	v_cmp_gt_i32_e32 vcc, 31, v4
	v_cndmask_b32_e32 v1, v10, v1, vcc
	v_cmp_ne_u32_e32 vcc, 0, v0
	v_cndmask_b32_e64 v0, 0, 1, vcc
	v_lshl_or_b32 v0, v0, 9, v10
	v_cmp_eq_u32_e32 vcc, s11, v4
	v_cndmask_b32_e32 v4, v1, v0, vcc
	v_mad_u64_u32 v[0:1], s[0:1], s8, v11, v[2:3]
	v_lshrrev_b32_e32 v5, 16, v5
	v_and_or_b32 v2, v5, s10, v4
	v_and_b32_e32 v3, 0xffff, v6
	v_lshl_or_b32 v2, v2, 16, v3
	v_add_u32_e32 v1, s4, v1
	global_store_dword v[0:1], v2, off
.LBB0_10:
	s_endpgm
	.section	.rodata,"a",@progbits
	.p2align	6, 0x0
	.amdhsa_kernel bluestein_single_back_len63_dim1_half_op_CI_CI
		.amdhsa_group_segment_fixed_size 3024
		.amdhsa_private_segment_fixed_size 0
		.amdhsa_kernarg_size 104
		.amdhsa_user_sgpr_count 6
		.amdhsa_user_sgpr_private_segment_buffer 1
		.amdhsa_user_sgpr_dispatch_ptr 0
		.amdhsa_user_sgpr_queue_ptr 0
		.amdhsa_user_sgpr_kernarg_segment_ptr 1
		.amdhsa_user_sgpr_dispatch_id 0
		.amdhsa_user_sgpr_flat_scratch_init 0
		.amdhsa_user_sgpr_private_segment_size 0
		.amdhsa_uses_dynamic_stack 0
		.amdhsa_system_sgpr_private_segment_wavefront_offset 0
		.amdhsa_system_sgpr_workgroup_id_x 1
		.amdhsa_system_sgpr_workgroup_id_y 0
		.amdhsa_system_sgpr_workgroup_id_z 0
		.amdhsa_system_sgpr_workgroup_info 0
		.amdhsa_system_vgpr_workitem_id 0
		.amdhsa_next_free_vgpr 46
		.amdhsa_next_free_sgpr 20
		.amdhsa_reserve_vcc 1
		.amdhsa_reserve_flat_scratch 0
		.amdhsa_float_round_mode_32 0
		.amdhsa_float_round_mode_16_64 0
		.amdhsa_float_denorm_mode_32 3
		.amdhsa_float_denorm_mode_16_64 3
		.amdhsa_dx10_clamp 1
		.amdhsa_ieee_mode 1
		.amdhsa_fp16_overflow 0
		.amdhsa_exception_fp_ieee_invalid_op 0
		.amdhsa_exception_fp_denorm_src 0
		.amdhsa_exception_fp_ieee_div_zero 0
		.amdhsa_exception_fp_ieee_overflow 0
		.amdhsa_exception_fp_ieee_underflow 0
		.amdhsa_exception_fp_ieee_inexact 0
		.amdhsa_exception_int_div_zero 0
	.end_amdhsa_kernel
	.text
.Lfunc_end0:
	.size	bluestein_single_back_len63_dim1_half_op_CI_CI, .Lfunc_end0-bluestein_single_back_len63_dim1_half_op_CI_CI
                                        ; -- End function
	.section	.AMDGPU.csdata,"",@progbits
; Kernel info:
; codeLenInByte = 4980
; NumSgprs: 24
; NumVgprs: 46
; ScratchSize: 0
; MemoryBound: 0
; FloatMode: 240
; IeeeMode: 1
; LDSByteSize: 3024 bytes/workgroup (compile time only)
; SGPRBlocks: 2
; VGPRBlocks: 11
; NumSGPRsForWavesPerEU: 24
; NumVGPRsForWavesPerEU: 46
; Occupancy: 5
; WaveLimiterHint : 1
; COMPUTE_PGM_RSRC2:SCRATCH_EN: 0
; COMPUTE_PGM_RSRC2:USER_SGPR: 6
; COMPUTE_PGM_RSRC2:TRAP_HANDLER: 0
; COMPUTE_PGM_RSRC2:TGID_X_EN: 1
; COMPUTE_PGM_RSRC2:TGID_Y_EN: 0
; COMPUTE_PGM_RSRC2:TGID_Z_EN: 0
; COMPUTE_PGM_RSRC2:TIDIG_COMP_CNT: 0
	.type	__hip_cuid_90e261336ce68cae,@object ; @__hip_cuid_90e261336ce68cae
	.section	.bss,"aw",@nobits
	.globl	__hip_cuid_90e261336ce68cae
__hip_cuid_90e261336ce68cae:
	.byte	0                               ; 0x0
	.size	__hip_cuid_90e261336ce68cae, 1

	.ident	"AMD clang version 19.0.0git (https://github.com/RadeonOpenCompute/llvm-project roc-6.4.0 25133 c7fe45cf4b819c5991fe208aaa96edf142730f1d)"
	.section	".note.GNU-stack","",@progbits
	.addrsig
	.addrsig_sym __hip_cuid_90e261336ce68cae
	.amdgpu_metadata
---
amdhsa.kernels:
  - .args:
      - .actual_access:  read_only
        .address_space:  global
        .offset:         0
        .size:           8
        .value_kind:     global_buffer
      - .actual_access:  read_only
        .address_space:  global
        .offset:         8
        .size:           8
        .value_kind:     global_buffer
      - .actual_access:  read_only
        .address_space:  global
        .offset:         16
        .size:           8
        .value_kind:     global_buffer
      - .actual_access:  read_only
        .address_space:  global
        .offset:         24
        .size:           8
        .value_kind:     global_buffer
      - .actual_access:  read_only
        .address_space:  global
        .offset:         32
        .size:           8
        .value_kind:     global_buffer
      - .offset:         40
        .size:           8
        .value_kind:     by_value
      - .address_space:  global
        .offset:         48
        .size:           8
        .value_kind:     global_buffer
      - .address_space:  global
        .offset:         56
        .size:           8
        .value_kind:     global_buffer
      - .address_space:  global
        .offset:         64
        .size:           8
        .value_kind:     global_buffer
      - .address_space:  global
        .offset:         72
        .size:           8
        .value_kind:     global_buffer
      - .offset:         80
        .size:           4
        .value_kind:     by_value
      - .address_space:  global
        .offset:         88
        .size:           8
        .value_kind:     global_buffer
      - .address_space:  global
        .offset:         96
        .size:           8
        .value_kind:     global_buffer
    .group_segment_fixed_size: 3024
    .kernarg_segment_align: 8
    .kernarg_segment_size: 104
    .language:       OpenCL C
    .language_version:
      - 2
      - 0
    .max_flat_workgroup_size: 252
    .name:           bluestein_single_back_len63_dim1_half_op_CI_CI
    .private_segment_fixed_size: 0
    .sgpr_count:     24
    .sgpr_spill_count: 0
    .symbol:         bluestein_single_back_len63_dim1_half_op_CI_CI.kd
    .uniform_work_group_size: 1
    .uses_dynamic_stack: false
    .vgpr_count:     46
    .vgpr_spill_count: 0
    .wavefront_size: 64
amdhsa.target:   amdgcn-amd-amdhsa--gfx906
amdhsa.version:
  - 1
  - 2
...

	.end_amdgpu_metadata
